;; amdgpu-corpus repo=ROCm/rocFFT kind=compiled arch=gfx1201 opt=O3
	.text
	.amdgcn_target "amdgcn-amd-amdhsa--gfx1201"
	.amdhsa_code_object_version 6
	.protected	fft_rtc_back_len468_factors_13_9_4_wgs_52_tpt_52_dp_ip_CI_sbrr_dirReg ; -- Begin function fft_rtc_back_len468_factors_13_9_4_wgs_52_tpt_52_dp_ip_CI_sbrr_dirReg
	.globl	fft_rtc_back_len468_factors_13_9_4_wgs_52_tpt_52_dp_ip_CI_sbrr_dirReg
	.p2align	8
	.type	fft_rtc_back_len468_factors_13_9_4_wgs_52_tpt_52_dp_ip_CI_sbrr_dirReg,@function
fft_rtc_back_len468_factors_13_9_4_wgs_52_tpt_52_dp_ip_CI_sbrr_dirReg: ; @fft_rtc_back_len468_factors_13_9_4_wgs_52_tpt_52_dp_ip_CI_sbrr_dirReg
; %bb.0:
	s_clause 0x2
	s_load_b64 s[12:13], s[0:1], 0x18
	s_load_b128 s[4:7], s[0:1], 0x0
	s_load_b64 s[10:11], s[0:1], 0x50
	v_mul_u32_u24_e32 v1, 0x4ed, v0
	v_mov_b32_e32 v3, 0
	s_delay_alu instid0(VALU_DEP_2) | instskip(NEXT) | instid1(VALU_DEP_1)
	v_lshrrev_b32_e32 v1, 16, v1
	v_add_nc_u32_e32 v5, ttmp9, v1
	v_mov_b32_e32 v1, 0
	v_mov_b32_e32 v2, 0
	;; [unrolled: 1-line block ×3, first 2 shown]
	s_wait_kmcnt 0x0
	s_load_b64 s[8:9], s[12:13], 0x0
	v_cmp_lt_u64_e64 s2, s[6:7], 2
	s_delay_alu instid0(VALU_DEP_1)
	s_and_b32 vcc_lo, exec_lo, s2
	s_cbranch_vccnz .LBB0_8
; %bb.1:
	s_load_b64 s[2:3], s[0:1], 0x10
	v_mov_b32_e32 v1, 0
	v_mov_b32_e32 v2, 0
	s_add_nc_u64 s[14:15], s[12:13], 8
	s_mov_b64 s[16:17], 1
	s_wait_kmcnt 0x0
	s_add_nc_u64 s[18:19], s[2:3], 8
	s_mov_b32 s3, 0
.LBB0_2:                                ; =>This Inner Loop Header: Depth=1
	s_load_b64 s[20:21], s[18:19], 0x0
                                        ; implicit-def: $vgpr7_vgpr8
	s_mov_b32 s2, exec_lo
	s_wait_kmcnt 0x0
	v_or_b32_e32 v4, s21, v6
	s_delay_alu instid0(VALU_DEP_1)
	v_cmpx_ne_u64_e32 0, v[3:4]
	s_wait_alu 0xfffe
	s_xor_b32 s22, exec_lo, s2
	s_cbranch_execz .LBB0_4
; %bb.3:                                ;   in Loop: Header=BB0_2 Depth=1
	s_cvt_f32_u32 s2, s20
	s_cvt_f32_u32 s23, s21
	s_sub_nc_u64 s[26:27], 0, s[20:21]
	s_wait_alu 0xfffe
	s_delay_alu instid0(SALU_CYCLE_1) | instskip(SKIP_1) | instid1(SALU_CYCLE_2)
	s_fmamk_f32 s2, s23, 0x4f800000, s2
	s_wait_alu 0xfffe
	v_s_rcp_f32 s2, s2
	s_delay_alu instid0(TRANS32_DEP_1) | instskip(SKIP_1) | instid1(SALU_CYCLE_2)
	s_mul_f32 s2, s2, 0x5f7ffffc
	s_wait_alu 0xfffe
	s_mul_f32 s23, s2, 0x2f800000
	s_wait_alu 0xfffe
	s_delay_alu instid0(SALU_CYCLE_2) | instskip(SKIP_1) | instid1(SALU_CYCLE_2)
	s_trunc_f32 s23, s23
	s_wait_alu 0xfffe
	s_fmamk_f32 s2, s23, 0xcf800000, s2
	s_cvt_u32_f32 s25, s23
	s_wait_alu 0xfffe
	s_delay_alu instid0(SALU_CYCLE_1) | instskip(SKIP_1) | instid1(SALU_CYCLE_2)
	s_cvt_u32_f32 s24, s2
	s_wait_alu 0xfffe
	s_mul_u64 s[28:29], s[26:27], s[24:25]
	s_wait_alu 0xfffe
	s_mul_hi_u32 s31, s24, s29
	s_mul_i32 s30, s24, s29
	s_mul_hi_u32 s2, s24, s28
	s_mul_i32 s33, s25, s28
	s_wait_alu 0xfffe
	s_add_nc_u64 s[30:31], s[2:3], s[30:31]
	s_mul_hi_u32 s23, s25, s28
	s_mul_hi_u32 s34, s25, s29
	s_add_co_u32 s2, s30, s33
	s_wait_alu 0xfffe
	s_add_co_ci_u32 s2, s31, s23
	s_mul_i32 s28, s25, s29
	s_add_co_ci_u32 s29, s34, 0
	s_wait_alu 0xfffe
	s_add_nc_u64 s[28:29], s[2:3], s[28:29]
	s_wait_alu 0xfffe
	v_add_co_u32 v4, s2, s24, s28
	s_delay_alu instid0(VALU_DEP_1) | instskip(SKIP_1) | instid1(VALU_DEP_1)
	s_cmp_lg_u32 s2, 0
	s_add_co_ci_u32 s25, s25, s29
	v_readfirstlane_b32 s24, v4
	s_wait_alu 0xfffe
	s_delay_alu instid0(VALU_DEP_1)
	s_mul_u64 s[26:27], s[26:27], s[24:25]
	s_wait_alu 0xfffe
	s_mul_hi_u32 s29, s24, s27
	s_mul_i32 s28, s24, s27
	s_mul_hi_u32 s2, s24, s26
	s_mul_i32 s30, s25, s26
	s_wait_alu 0xfffe
	s_add_nc_u64 s[28:29], s[2:3], s[28:29]
	s_mul_hi_u32 s23, s25, s26
	s_mul_hi_u32 s24, s25, s27
	s_wait_alu 0xfffe
	s_add_co_u32 s2, s28, s30
	s_add_co_ci_u32 s2, s29, s23
	s_mul_i32 s26, s25, s27
	s_add_co_ci_u32 s27, s24, 0
	s_wait_alu 0xfffe
	s_add_nc_u64 s[26:27], s[2:3], s[26:27]
	s_wait_alu 0xfffe
	v_add_co_u32 v4, s2, v4, s26
	s_delay_alu instid0(VALU_DEP_1) | instskip(SKIP_1) | instid1(VALU_DEP_1)
	s_cmp_lg_u32 s2, 0
	s_add_co_ci_u32 s2, s25, s27
	v_mul_hi_u32 v13, v5, v4
	s_wait_alu 0xfffe
	v_mad_co_u64_u32 v[7:8], null, v5, s2, 0
	v_mad_co_u64_u32 v[9:10], null, v6, v4, 0
	;; [unrolled: 1-line block ×3, first 2 shown]
	s_delay_alu instid0(VALU_DEP_3) | instskip(SKIP_1) | instid1(VALU_DEP_4)
	v_add_co_u32 v4, vcc_lo, v13, v7
	s_wait_alu 0xfffd
	v_add_co_ci_u32_e32 v7, vcc_lo, 0, v8, vcc_lo
	s_delay_alu instid0(VALU_DEP_2) | instskip(SKIP_1) | instid1(VALU_DEP_2)
	v_add_co_u32 v4, vcc_lo, v4, v9
	s_wait_alu 0xfffd
	v_add_co_ci_u32_e32 v4, vcc_lo, v7, v10, vcc_lo
	s_wait_alu 0xfffd
	v_add_co_ci_u32_e32 v7, vcc_lo, 0, v12, vcc_lo
	s_delay_alu instid0(VALU_DEP_2) | instskip(SKIP_1) | instid1(VALU_DEP_2)
	v_add_co_u32 v4, vcc_lo, v4, v11
	s_wait_alu 0xfffd
	v_add_co_ci_u32_e32 v9, vcc_lo, 0, v7, vcc_lo
	s_delay_alu instid0(VALU_DEP_2) | instskip(SKIP_1) | instid1(VALU_DEP_3)
	v_mul_lo_u32 v10, s21, v4
	v_mad_co_u64_u32 v[7:8], null, s20, v4, 0
	v_mul_lo_u32 v11, s20, v9
	s_delay_alu instid0(VALU_DEP_2) | instskip(NEXT) | instid1(VALU_DEP_2)
	v_sub_co_u32 v7, vcc_lo, v5, v7
	v_add3_u32 v8, v8, v11, v10
	s_delay_alu instid0(VALU_DEP_1) | instskip(SKIP_1) | instid1(VALU_DEP_1)
	v_sub_nc_u32_e32 v10, v6, v8
	s_wait_alu 0xfffd
	v_subrev_co_ci_u32_e64 v10, s2, s21, v10, vcc_lo
	v_add_co_u32 v11, s2, v4, 2
	s_wait_alu 0xf1ff
	v_add_co_ci_u32_e64 v12, s2, 0, v9, s2
	v_sub_co_u32 v13, s2, v7, s20
	v_sub_co_ci_u32_e32 v8, vcc_lo, v6, v8, vcc_lo
	s_wait_alu 0xf1ff
	v_subrev_co_ci_u32_e64 v10, s2, 0, v10, s2
	s_delay_alu instid0(VALU_DEP_3) | instskip(NEXT) | instid1(VALU_DEP_3)
	v_cmp_le_u32_e32 vcc_lo, s20, v13
	v_cmp_eq_u32_e64 s2, s21, v8
	s_wait_alu 0xfffd
	v_cndmask_b32_e64 v13, 0, -1, vcc_lo
	v_cmp_le_u32_e32 vcc_lo, s21, v10
	s_wait_alu 0xfffd
	v_cndmask_b32_e64 v14, 0, -1, vcc_lo
	v_cmp_le_u32_e32 vcc_lo, s20, v7
	;; [unrolled: 3-line block ×3, first 2 shown]
	s_wait_alu 0xfffd
	v_cndmask_b32_e64 v15, 0, -1, vcc_lo
	v_cmp_eq_u32_e32 vcc_lo, s21, v10
	s_wait_alu 0xf1ff
	s_delay_alu instid0(VALU_DEP_2)
	v_cndmask_b32_e64 v7, v15, v7, s2
	s_wait_alu 0xfffd
	v_cndmask_b32_e32 v10, v14, v13, vcc_lo
	v_add_co_u32 v13, vcc_lo, v4, 1
	s_wait_alu 0xfffd
	v_add_co_ci_u32_e32 v14, vcc_lo, 0, v9, vcc_lo
	s_delay_alu instid0(VALU_DEP_3) | instskip(SKIP_2) | instid1(VALU_DEP_3)
	v_cmp_ne_u32_e32 vcc_lo, 0, v10
	s_wait_alu 0xfffd
	v_cndmask_b32_e32 v10, v13, v11, vcc_lo
	v_cndmask_b32_e32 v8, v14, v12, vcc_lo
	v_cmp_ne_u32_e32 vcc_lo, 0, v7
	s_wait_alu 0xfffd
	s_delay_alu instid0(VALU_DEP_2)
	v_dual_cndmask_b32 v7, v4, v10 :: v_dual_cndmask_b32 v8, v9, v8
.LBB0_4:                                ;   in Loop: Header=BB0_2 Depth=1
	s_wait_alu 0xfffe
	s_and_not1_saveexec_b32 s2, s22
	s_cbranch_execz .LBB0_6
; %bb.5:                                ;   in Loop: Header=BB0_2 Depth=1
	v_cvt_f32_u32_e32 v4, s20
	s_sub_co_i32 s22, 0, s20
	s_delay_alu instid0(VALU_DEP_1) | instskip(NEXT) | instid1(TRANS32_DEP_1)
	v_rcp_iflag_f32_e32 v4, v4
	v_mul_f32_e32 v4, 0x4f7ffffe, v4
	s_delay_alu instid0(VALU_DEP_1) | instskip(SKIP_1) | instid1(VALU_DEP_1)
	v_cvt_u32_f32_e32 v4, v4
	s_wait_alu 0xfffe
	v_mul_lo_u32 v7, s22, v4
	s_delay_alu instid0(VALU_DEP_1) | instskip(NEXT) | instid1(VALU_DEP_1)
	v_mul_hi_u32 v7, v4, v7
	v_add_nc_u32_e32 v4, v4, v7
	s_delay_alu instid0(VALU_DEP_1) | instskip(NEXT) | instid1(VALU_DEP_1)
	v_mul_hi_u32 v4, v5, v4
	v_mul_lo_u32 v7, v4, s20
	v_add_nc_u32_e32 v8, 1, v4
	s_delay_alu instid0(VALU_DEP_2) | instskip(NEXT) | instid1(VALU_DEP_1)
	v_sub_nc_u32_e32 v7, v5, v7
	v_subrev_nc_u32_e32 v9, s20, v7
	v_cmp_le_u32_e32 vcc_lo, s20, v7
	s_wait_alu 0xfffd
	s_delay_alu instid0(VALU_DEP_2) | instskip(NEXT) | instid1(VALU_DEP_1)
	v_dual_cndmask_b32 v7, v7, v9 :: v_dual_cndmask_b32 v4, v4, v8
	v_cmp_le_u32_e32 vcc_lo, s20, v7
	s_delay_alu instid0(VALU_DEP_2) | instskip(SKIP_1) | instid1(VALU_DEP_1)
	v_add_nc_u32_e32 v8, 1, v4
	s_wait_alu 0xfffd
	v_dual_cndmask_b32 v7, v4, v8 :: v_dual_mov_b32 v8, v3
.LBB0_6:                                ;   in Loop: Header=BB0_2 Depth=1
	s_wait_alu 0xfffe
	s_or_b32 exec_lo, exec_lo, s2
	s_load_b64 s[22:23], s[14:15], 0x0
	s_delay_alu instid0(VALU_DEP_1)
	v_mul_lo_u32 v4, v8, s20
	v_mul_lo_u32 v11, v7, s21
	v_mad_co_u64_u32 v[9:10], null, v7, s20, 0
	s_add_nc_u64 s[16:17], s[16:17], 1
	s_add_nc_u64 s[14:15], s[14:15], 8
	s_wait_alu 0xfffe
	v_cmp_ge_u64_e64 s2, s[16:17], s[6:7]
	s_add_nc_u64 s[18:19], s[18:19], 8
	s_delay_alu instid0(VALU_DEP_2) | instskip(NEXT) | instid1(VALU_DEP_3)
	v_add3_u32 v4, v10, v11, v4
	v_sub_co_u32 v5, vcc_lo, v5, v9
	s_wait_alu 0xfffd
	s_delay_alu instid0(VALU_DEP_2) | instskip(SKIP_3) | instid1(VALU_DEP_2)
	v_sub_co_ci_u32_e32 v4, vcc_lo, v6, v4, vcc_lo
	s_and_b32 vcc_lo, exec_lo, s2
	s_wait_kmcnt 0x0
	v_mul_lo_u32 v6, s23, v5
	v_mul_lo_u32 v4, s22, v4
	v_mad_co_u64_u32 v[1:2], null, s22, v5, v[1:2]
	s_delay_alu instid0(VALU_DEP_1)
	v_add3_u32 v2, v6, v2, v4
	s_wait_alu 0xfffe
	s_cbranch_vccnz .LBB0_9
; %bb.7:                                ;   in Loop: Header=BB0_2 Depth=1
	v_dual_mov_b32 v5, v7 :: v_dual_mov_b32 v6, v8
	s_branch .LBB0_2
.LBB0_8:
	v_dual_mov_b32 v8, v6 :: v_dual_mov_b32 v7, v5
.LBB0_9:
	s_lshl_b64 s[2:3], s[6:7], 3
	v_mul_hi_u32 v3, 0x4ec4ec5, v0
	s_wait_alu 0xfffe
	s_add_nc_u64 s[2:3], s[12:13], s[2:3]
	s_load_b64 s[0:1], s[0:1], 0x20
	s_load_b64 s[2:3], s[2:3], 0x0
	s_delay_alu instid0(VALU_DEP_1) | instskip(NEXT) | instid1(VALU_DEP_1)
	v_mul_u32_u24_e32 v3, 52, v3
	v_sub_nc_u32_e32 v195, v0, v3
	s_delay_alu instid0(VALU_DEP_1)
	v_lshl_add_u32 v186, v195, 4, 0
	v_add_nc_u32_e32 v193, 52, v195
	v_add_nc_u32_e32 v194, 0x68, v195
	;; [unrolled: 1-line block ×3, first 2 shown]
	s_wait_kmcnt 0x0
	v_cmp_gt_u64_e32 vcc_lo, s[0:1], v[7:8]
	v_mul_lo_u32 v3, s2, v8
	v_mul_lo_u32 v4, s3, v7
	v_mad_co_u64_u32 v[0:1], null, s2, v7, v[1:2]
	v_add_nc_u32_e32 v191, 0xd0, v195
	v_add_nc_u32_e32 v190, 0x104, v195
	;; [unrolled: 1-line block ×5, first 2 shown]
	v_add3_u32 v1, v4, v1, v3
	s_delay_alu instid0(VALU_DEP_1)
	v_lshlrev_b64_e32 v[64:65], 4, v[0:1]
	s_and_saveexec_b32 s1, vcc_lo
	s_cbranch_execz .LBB0_11
; %bb.10:
	v_mad_co_u64_u32 v[0:1], null, s8, v195, 0
	v_mad_co_u64_u32 v[2:3], null, s8, v193, 0
	;; [unrolled: 1-line block ×5, first 2 shown]
	s_delay_alu instid0(VALU_DEP_4) | instskip(SKIP_4) | instid1(VALU_DEP_4)
	v_mad_co_u64_u32 v[4:5], null, s9, v195, v[1:2]
	v_add_co_u32 v32, s0, s10, v64
	s_wait_alu 0xf1ff
	v_add_co_ci_u32_e64 v33, s0, s11, v65, s0
	v_mad_co_u64_u32 v[18:19], null, s8, v190, 0
	v_mad_co_u64_u32 v[5:6], null, s9, v193, v[3:4]
	v_dual_mov_b32 v1, v4 :: v_dual_mov_b32 v4, v9
	v_mov_b32_e32 v6, v11
	v_mad_co_u64_u32 v[20:21], null, s8, v189, 0
	s_delay_alu instid0(VALU_DEP_3) | instskip(SKIP_3) | instid1(VALU_DEP_3)
	v_lshlrev_b64_e32 v[0:1], 4, v[0:1]
	v_mov_b32_e32 v3, v5
	v_mad_co_u64_u32 v[4:5], null, s9, v194, v[4:5]
	v_mad_co_u64_u32 v[5:6], null, s9, v192, v[6:7]
	v_lshlrev_b64_e32 v[2:3], 4, v[2:3]
	v_add_co_u32 v0, s0, v32, v0
	s_delay_alu instid0(VALU_DEP_4)
	v_dual_mov_b32 v12, v17 :: v_dual_mov_b32 v9, v4
	s_wait_alu 0xf1ff
	v_add_co_ci_u32_e64 v1, s0, v33, v1, s0
	v_mov_b32_e32 v11, v5
	v_add_co_u32 v6, s0, v32, v2
	v_lshlrev_b64_e32 v[8:9], 4, v[8:9]
	s_wait_alu 0xf1ff
	v_add_co_ci_u32_e64 v7, s0, v33, v3, s0
	v_lshlrev_b64_e32 v[10:11], 4, v[10:11]
	v_mad_co_u64_u32 v[12:13], null, s9, v191, v[12:13]
	s_delay_alu instid0(VALU_DEP_4) | instskip(SKIP_2) | instid1(VALU_DEP_4)
	v_add_co_u32 v8, s0, v32, v8
	s_wait_alu 0xf1ff
	v_add_co_ci_u32_e64 v9, s0, v33, v9, s0
	v_add_co_u32 v13, s0, v32, v10
	v_mov_b32_e32 v10, v19
	s_wait_alu 0xf1ff
	v_add_co_ci_u32_e64 v14, s0, v33, v11, s0
	v_mov_b32_e32 v11, v21
	v_mad_co_u64_u32 v[22:23], null, s8, v188, 0
	s_clause 0x1
	global_load_b128 v[0:3], v[0:1], off
	global_load_b128 v[4:7], v[6:7], off
	v_mad_co_u64_u32 v[24:25], null, s9, v190, v[10:11]
	v_mad_co_u64_u32 v[25:26], null, s9, v189, v[11:12]
	;; [unrolled: 1-line block ×3, first 2 shown]
	v_mov_b32_e32 v17, v12
	s_clause 0x1
	global_load_b128 v[8:11], v[8:9], off
	global_load_b128 v[12:15], v[13:14], off
	v_mov_b32_e32 v19, v24
	v_mad_co_u64_u32 v[23:24], null, s9, v188, v[23:24]
	v_dual_mov_b32 v21, v25 :: v_dual_mov_b32 v24, v27
	v_lshlrev_b64_e32 v[16:17], 4, v[16:17]
	s_delay_alu instid0(VALU_DEP_4) | instskip(NEXT) | instid1(VALU_DEP_3)
	v_lshlrev_b64_e32 v[18:19], 4, v[18:19]
	v_lshlrev_b64_e32 v[20:21], 4, v[20:21]
	s_delay_alu instid0(VALU_DEP_4) | instskip(NEXT) | instid1(VALU_DEP_4)
	v_mad_co_u64_u32 v[24:25], null, s9, v187, v[24:25]
	v_add_co_u32 v16, s0, v32, v16
	s_wait_alu 0xf1ff
	v_add_co_ci_u32_e64 v17, s0, v33, v17, s0
	v_add_co_u32 v28, s0, v32, v18
	s_delay_alu instid0(VALU_DEP_4)
	v_mov_b32_e32 v27, v24
	s_wait_alu 0xf1ff
	v_add_co_ci_u32_e64 v29, s0, v33, v19, s0
	v_lshlrev_b64_e32 v[18:19], 4, v[22:23]
	v_add_co_u32 v24, s0, v32, v20
	s_wait_alu 0xf1ff
	v_add_co_ci_u32_e64 v25, s0, v33, v21, s0
	v_lshlrev_b64_e32 v[20:21], 4, v[26:27]
	s_delay_alu instid0(VALU_DEP_4) | instskip(SKIP_2) | instid1(VALU_DEP_3)
	v_add_co_u32 v30, s0, v32, v18
	s_wait_alu 0xf1ff
	v_add_co_ci_u32_e64 v31, s0, v33, v19, s0
	v_add_co_u32 v32, s0, v32, v20
	s_wait_alu 0xf1ff
	v_add_co_ci_u32_e64 v33, s0, v33, v21, s0
	s_clause 0x4
	global_load_b128 v[16:19], v[16:17], off
	global_load_b128 v[20:23], v[28:29], off
	;; [unrolled: 1-line block ×5, first 2 shown]
	s_wait_loadcnt 0x8
	ds_store_b128 v186, v[0:3]
	s_wait_loadcnt 0x7
	ds_store_b128 v186, v[4:7] offset:832
	s_wait_loadcnt 0x6
	ds_store_b128 v186, v[8:11] offset:1664
	;; [unrolled: 2-line block ×8, first 2 shown]
.LBB0_11:
	s_wait_alu 0xfffe
	s_or_b32 exec_lo, exec_lo, s1
	global_wb scope:SCOPE_SE
	s_wait_dscnt 0x0
	s_barrier_signal -1
	s_barrier_wait -1
	global_inv scope:SCOPE_SE
	ds_load_b128 v[12:15], v186 offset:6912
	ds_load_b128 v[36:39], v186 offset:576
	ds_load_b128 v[28:31], v186
	ds_load_b128 v[16:19], v186 offset:6336
	ds_load_b128 v[48:51], v186 offset:1152
	;; [unrolled: 1-line block ×3, first 2 shown]
	s_mov_b32 s12, 0x1ea71119
	s_mov_b32 s16, 0x42a4c3d2
	;; [unrolled: 1-line block ×12, first 2 shown]
	ds_load_b128 v[20:23], v186 offset:5760
	s_mov_b32 s18, 0x93053d00
	s_mov_b32 s24, 0x4bc48dbf
	;; [unrolled: 1-line block ×4, first 2 shown]
	s_wait_dscnt 0x5
	v_add_f64_e64 v[158:159], v[38:39], -v[14:15]
	v_add_f64_e32 v[138:139], v[38:39], v[14:15]
	s_wait_dscnt 0x2
	v_add_f64_e64 v[110:111], v[50:51], -v[18:19]
	v_add_f64_e32 v[66:67], v[50:51], v[18:19]
	v_add_f64_e32 v[166:167], v[36:37], v[12:13]
	v_add_f64_e64 v[176:177], v[36:37], -v[12:13]
	s_mov_b32 s19, 0xbfef11f4
	s_mov_b32 s25, 0xbfcea1e5
	;; [unrolled: 1-line block ×4, first 2 shown]
	v_add_f64_e32 v[120:121], v[48:49], v[16:17]
	v_add_f64_e64 v[164:165], v[48:49], -v[16:17]
	ds_load_b128 v[24:27], v186 offset:5184
	ds_load_b128 v[60:63], v186 offset:2304
	s_mov_b32 s22, 0xe00740e9
	s_wait_dscnt 0x2
	v_add_f64_e64 v[162:163], v[46:47], -v[22:23]
	v_add_f64_e32 v[122:123], v[46:47], v[22:23]
	s_mov_b32 s23, 0x3fec55a7
	s_mov_b32 s43, 0x3fddbe06
	;; [unrolled: 1-line block ×5, first 2 shown]
	v_add_f64_e32 v[132:133], v[44:45], v[20:21]
	v_add_f64_e64 v[174:175], v[44:45], -v[20:21]
	ds_load_b128 v[56:59], v186 offset:2880
	ds_load_b128 v[32:35], v186 offset:4608
	;; [unrolled: 1-line block ×4, first 2 shown]
	s_mov_b32 s29, 0x3fefc445
	s_mov_b32 s31, 0x3fcea1e5
	s_wait_alu 0xfffe
	s_mov_b32 s28, s26
	s_mov_b32 s30, s24
	;; [unrolled: 1-line block ×5, first 2 shown]
	s_wait_dscnt 0x4
	v_add_f64_e64 v[148:149], v[62:63], -v[26:27]
	v_add_f64_e32 v[72:73], v[62:63], v[26:27]
	v_add_f64_e32 v[88:89], v[60:61], v[24:25]
	v_add_f64_e64 v[160:161], v[60:61], -v[24:25]
	s_mov_b32 s34, s16
	v_mul_f64_e32 v[168:169], s[16:17], v[158:159]
	v_mul_f64_e32 v[170:171], s[12:13], v[138:139]
	;; [unrolled: 1-line block ×12, first 2 shown]
	s_wait_dscnt 0x2
	v_add_f64_e64 v[118:119], v[58:59], -v[34:35]
	v_add_f64_e32 v[70:71], v[58:59], v[34:35]
	v_add_f64_e64 v[134:135], v[56:57], -v[32:33]
	v_mul_f64_e32 v[142:143], s[24:25], v[162:163]
	v_mul_f64_e32 v[146:147], s[18:19], v[122:123]
	;; [unrolled: 1-line block ×6, first 2 shown]
	s_wait_dscnt 0x0
	v_add_f64_e64 v[124:125], v[54:55], -v[42:43]
	s_mov_b32 s1, exec_lo
	global_wb scope:SCOPE_SE
	s_barrier_signal -1
	s_barrier_wait -1
	global_inv scope:SCOPE_SE
	v_mul_f64_e32 v[104:105], s[38:39], v[148:149]
	v_mul_f64_e32 v[106:107], s[20:21], v[72:73]
	;; [unrolled: 1-line block ×5, first 2 shown]
	v_fma_f64 v[0:1], v[166:167], s[12:13], -v[168:169]
	v_fma_f64 v[2:3], v[176:177], s[16:17], v[170:171]
	v_fma_f64 v[4:5], v[166:167], s[6:7], -v[178:179]
	v_fma_f64 v[6:7], v[176:177], s[26:27], v[180:181]
	;; [unrolled: 2-line block ×6, first 2 shown]
	v_mul_f64_e32 v[116:117], s[6:7], v[72:73]
	s_wait_alu 0xfffe
	v_mul_f64_e32 v[90:91], s[28:29], v[118:119]
	v_mul_f64_e32 v[92:93], s[6:7], v[70:71]
	v_fma_f64 v[84:85], v[132:133], s[18:19], -v[142:143]
	v_fma_f64 v[86:87], v[174:175], s[24:25], v[146:147]
	v_fma_f64 v[94:95], v[132:133], s[2:3], -v[150:151]
	v_fma_f64 v[140:141], v[174:175], s[40:41], v[154:155]
	;; [unrolled: 2-line block ×3, first 2 shown]
	v_mul_f64_e32 v[96:97], s[16:17], v[118:119]
	v_mul_f64_e32 v[98:99], s[12:13], v[70:71]
	;; [unrolled: 1-line block ×4, first 2 shown]
	v_fma_f64 v[200:201], v[88:89], s[20:21], -v[104:105]
	v_fma_f64 v[202:203], v[160:161], s[38:39], v[106:107]
	v_fma_f64 v[204:205], v[88:89], s[22:23], -v[108:109]
	v_fma_f64 v[206:207], v[160:161], s[42:43], v[112:113]
	v_fma_f64 v[208:209], v[88:89], s[6:7], -v[114:115]
	v_add_f64_e32 v[0:1], v[28:29], v[0:1]
	v_add_f64_e32 v[2:3], v[30:31], v[2:3]
	;; [unrolled: 1-line block ×6, first 2 shown]
	v_fma_f64 v[210:211], v[160:161], s[26:27], v[116:117]
	v_fma_f64 v[214:215], v[134:135], s[16:17], v[98:99]
	;; [unrolled: 1-line block ×3, first 2 shown]
	v_add_f64_e32 v[0:1], v[68:69], v[0:1]
	v_add_f64_e32 v[2:3], v[74:75], v[2:3]
	;; [unrolled: 1-line block ×9, first 2 shown]
	v_mul_f64_e32 v[76:77], s[42:43], v[124:125]
	v_mul_f64_e32 v[82:83], s[36:37], v[124:125]
	v_add_f64_e32 v[0:1], v[84:85], v[0:1]
	v_add_f64_e32 v[2:3], v[86:87], v[2:3]
	;; [unrolled: 1-line block ×6, first 2 shown]
	v_add_f64_e64 v[140:141], v[52:53], -v[40:41]
	v_mul_f64_e32 v[78:79], s[22:23], v[68:69]
	v_mul_f64_e32 v[84:85], s[20:21], v[68:69]
	;; [unrolled: 1-line block ×4, first 2 shown]
	v_fma_f64 v[196:197], v[80:81], s[6:7], -v[90:91]
	v_fma_f64 v[198:199], v[134:135], s[28:29], v[92:93]
	v_fma_f64 v[212:213], v[80:81], s[12:13], -v[96:97]
	v_fma_f64 v[216:217], v[80:81], s[18:19], -v[100:101]
	v_add_f64_e32 v[0:1], v[200:201], v[0:1]
	v_add_f64_e32 v[2:3], v[202:203], v[2:3]
	;; [unrolled: 1-line block ×6, first 2 shown]
	v_fma_f64 v[200:201], v[74:75], s[22:23], -v[76:77]
	v_fma_f64 v[202:203], v[140:141], s[42:43], v[78:79]
	v_fma_f64 v[204:205], v[74:75], s[20:21], -v[82:83]
	v_fma_f64 v[206:207], v[140:141], s[36:37], v[84:85]
	;; [unrolled: 2-line block ×3, first 2 shown]
	v_add_f64_e32 v[0:1], v[196:197], v[0:1]
	v_add_f64_e32 v[2:3], v[198:199], v[2:3]
	;; [unrolled: 1-line block ×12, first 2 shown]
	v_cmpx_gt_u32_e32 36, v195
	s_cbranch_execz .LBB0_13
; %bb.12:
	v_add_f64_e32 v[36:37], v[28:29], v[36:37]
	v_add_f64_e32 v[38:39], v[30:31], v[38:39]
	v_mul_f64_e32 v[200:201], s[42:43], v[174:175]
	v_mul_f64_e32 v[204:205], s[42:43], v[160:161]
	v_mul_f64_e32 v[206:207], s[42:43], v[140:141]
	v_mul_f64_e32 v[208:209], s[42:43], v[164:165]
	v_mul_f64_e32 v[210:211], s[42:43], v[110:111]
	v_mul_f64_e32 v[212:213], s[42:43], v[134:135]
	v_mul_f64_e32 v[214:215], s[42:43], v[118:119]
	s_mov_b32 s43, 0xbfddbe06
	v_mul_f64_e32 v[196:197], s[14:15], v[176:177]
	v_mul_f64_e32 v[198:199], s[36:37], v[176:177]
	;; [unrolled: 1-line block ×16, first 2 shown]
	v_add_f64_e32 v[36:37], v[36:37], v[48:49]
	v_add_f64_e32 v[38:39], v[38:39], v[50:51]
	v_mul_f64_e32 v[48:49], s[24:25], v[176:177]
	v_mul_f64_e32 v[50:51], s[24:25], v[158:159]
	s_wait_alu 0xfffe
	v_mul_f64_e32 v[158:159], s[42:43], v[158:159]
	v_add_f64_e64 v[172:173], v[172:173], -v[200:201]
	v_mul_f64_e32 v[200:201], s[34:35], v[160:161]
	v_add_f64_e64 v[78:79], v[78:79], -v[206:207]
	v_add_f64_e64 v[184:185], v[184:185], -v[196:197]
	v_fma_f64 v[222:223], v[138:139], s[20:21], v[198:199]
	v_fma_f64 v[198:199], v[138:139], s[20:21], -v[198:199]
	v_fma_f64 v[224:225], v[166:167], s[20:21], -v[202:203]
	v_fma_f64 v[202:203], v[166:167], s[20:21], v[202:203]
	v_add_f64_e32 v[168:169], v[216:217], v[168:169]
	v_mul_f64_e32 v[196:197], s[24:25], v[164:165]
	v_add_f64_e64 v[128:129], v[128:129], -v[240:241]
	v_add_f64_e32 v[130:131], v[226:227], v[130:131]
	v_add_f64_e32 v[150:151], v[230:231], v[150:151]
	v_fma_f64 v[230:231], v[120:121], s[6:7], v[244:245]
	v_fma_f64 v[226:227], v[122:123], s[20:21], v[232:233]
	v_add_f64_e64 v[146:147], v[146:147], -v[228:229]
	v_fma_f64 v[228:229], v[132:133], s[20:21], -v[238:239]
	v_fma_f64 v[232:233], v[122:123], s[20:21], -v[232:233]
	v_fma_f64 v[238:239], v[132:133], s[20:21], v[238:239]
	v_mul_f64_e32 v[216:217], s[22:23], v[88:89]
	v_add_f64_e64 v[106:107], v[106:107], -v[234:235]
	v_add_f64_e32 v[36:37], v[36:37], v[44:45]
	v_add_f64_e32 v[38:39], v[38:39], v[46:47]
	v_mul_f64_e32 v[44:45], s[16:17], v[176:177]
	v_mul_f64_e32 v[46:47], s[6:7], v[166:167]
	v_fma_f64 v[218:219], v[138:139], s[18:19], v[48:49]
	v_fma_f64 v[48:49], v[138:139], s[18:19], -v[48:49]
	v_fma_f64 v[220:221], v[166:167], s[18:19], -v[50:51]
	v_fma_f64 v[50:51], v[166:167], s[18:19], v[50:51]
	v_add_f64_e32 v[184:185], v[30:31], v[184:185]
	v_add_f64_e32 v[222:223], v[30:31], v[222:223]
	v_add_f64_e32 v[198:199], v[30:31], v[198:199]
	v_add_f64_e32 v[224:225], v[28:29], v[224:225]
	v_add_f64_e32 v[202:203], v[28:29], v[202:203]
	v_add_f64_e32 v[168:169], v[28:29], v[168:169]
	v_add_f64_e64 v[136:137], v[136:137], -v[196:197]
	v_fma_f64 v[196:197], v[120:121], s[6:7], -v[244:245]
	v_mul_f64_e32 v[244:245], s[6:7], v[80:81]
	v_add_f64_e32 v[108:109], v[216:217], v[108:109]
	v_add_f64_e32 v[36:37], v[36:37], v[60:61]
	v_mul_f64_e32 v[60:61], s[26:27], v[176:177]
	v_mul_f64_e32 v[176:177], s[42:43], v[176:177]
	v_add_f64_e32 v[38:39], v[38:39], v[62:63]
	v_mul_f64_e32 v[62:63], s[2:3], v[166:167]
	v_add_f64_e64 v[44:45], v[170:171], -v[44:45]
	v_add_f64_e32 v[46:47], v[46:47], v[178:179]
	v_fma_f64 v[178:179], v[166:167], s[22:23], -v[158:159]
	v_fma_f64 v[158:159], v[166:167], s[22:23], v[158:159]
	v_add_f64_e32 v[218:219], v[30:31], v[218:219]
	v_add_f64_e32 v[48:49], v[30:31], v[48:49]
	;; [unrolled: 1-line block ×4, first 2 shown]
	v_mul_f64_e32 v[166:167], s[6:7], v[88:89]
	v_add_f64_e32 v[202:203], v[230:231], v[202:203]
	v_mul_f64_e32 v[230:231], s[20:21], v[74:75]
	v_add_f64_e32 v[196:197], v[196:197], v[224:225]
	;; [unrolled: 2-line block ×3, first 2 shown]
	v_add_f64_e32 v[36:37], v[36:37], v[56:57]
	v_add_f64_e64 v[60:61], v[180:181], -v[60:61]
	v_fma_f64 v[170:171], v[138:139], s[22:23], v[176:177]
	v_fma_f64 v[138:139], v[138:139], s[22:23], -v[176:177]
	v_add_f64_e32 v[38:39], v[38:39], v[58:59]
	v_add_f64_e32 v[62:63], v[62:63], v[182:183]
	v_mul_f64_e32 v[180:181], s[20:21], v[120:121]
	v_add_f64_e32 v[44:45], v[30:31], v[44:45]
	v_mul_f64_e32 v[58:59], s[38:39], v[164:165]
	v_mul_f64_e32 v[182:183], s[40:41], v[174:175]
	v_add_f64_e32 v[46:47], v[28:29], v[46:47]
	v_add_f64_e32 v[178:179], v[28:29], v[178:179]
	v_mul_f64_e32 v[164:165], s[16:17], v[164:165]
	v_mul_f64_e32 v[176:177], s[22:23], v[132:133]
	;; [unrolled: 1-line block ×3, first 2 shown]
	v_add_f64_e32 v[82:83], v[230:231], v[82:83]
	v_add_f64_e64 v[102:103], v[102:103], -v[224:225]
	v_add_f64_e32 v[36:37], v[36:37], v[52:53]
	v_add_f64_e32 v[60:61], v[30:31], v[60:61]
	;; [unrolled: 1-line block ×4, first 2 shown]
	v_mul_f64_e32 v[138:139], s[2:3], v[120:121]
	v_add_f64_e32 v[38:39], v[38:39], v[54:55]
	v_mul_f64_e32 v[52:53], s[18:19], v[132:133]
	v_mul_f64_e32 v[54:55], s[16:17], v[174:175]
	v_add_f64_e32 v[62:63], v[28:29], v[62:63]
	v_add_f64_e32 v[28:29], v[28:29], v[158:159]
	v_mul_f64_e32 v[158:159], s[26:27], v[174:175]
	v_add_f64_e32 v[144:145], v[180:181], v[144:145]
	v_fma_f64 v[180:181], v[66:67], s[22:23], v[208:209]
	v_fma_f64 v[208:209], v[66:67], s[22:23], -v[208:209]
	v_add_f64_e64 v[58:59], v[152:153], -v[58:59]
	v_add_f64_e64 v[154:155], v[154:155], -v[182:183]
	v_fma_f64 v[182:183], v[66:67], s[6:7], v[236:237]
	v_fma_f64 v[236:237], v[66:67], s[6:7], -v[236:237]
	v_mul_f64_e32 v[174:175], s[20:21], v[88:89]
	v_mul_f64_e32 v[152:153], s[34:35], v[148:149]
	v_add_f64_e32 v[44:45], v[128:129], v[44:45]
	v_add_f64_e32 v[156:157], v[176:177], v[156:157]
	v_mul_f64_e32 v[176:177], s[30:31], v[160:161]
	v_mul_f64_e32 v[160:161], s[14:15], v[160:161]
	v_add_f64_e32 v[46:47], v[130:131], v[46:47]
	v_mul_f64_e32 v[130:131], s[28:29], v[140:141]
	v_mul_f64_e32 v[128:129], s[28:29], v[124:125]
	v_add_f64_e32 v[36:37], v[36:37], v[40:41]
	v_fma_f64 v[40:41], v[120:121], s[22:23], -v[210:211]
	v_fma_f64 v[210:211], v[120:121], s[22:23], v[210:211]
	v_add_f64_e32 v[60:61], v[136:137], v[60:61]
	v_add_f64_e32 v[126:127], v[138:139], v[126:127]
	;; [unrolled: 1-line block ×4, first 2 shown]
	v_fma_f64 v[240:241], v[122:123], s[12:13], v[54:55]
	v_fma_f64 v[142:143], v[132:133], s[12:13], -v[242:243]
	v_fma_f64 v[54:55], v[122:123], s[12:13], -v[54:55]
	v_fma_f64 v[138:139], v[122:123], s[6:7], v[158:159]
	v_fma_f64 v[122:123], v[122:123], s[6:7], -v[158:159]
	v_fma_f64 v[158:159], v[66:67], s[12:13], v[164:165]
	v_fma_f64 v[242:243], v[132:133], s[12:13], v[242:243]
	v_fma_f64 v[66:67], v[66:67], s[12:13], -v[164:165]
	v_fma_f64 v[164:165], v[132:133], s[6:7], -v[162:163]
	v_fma_f64 v[132:133], v[132:133], s[6:7], v[162:163]
	v_fma_f64 v[162:163], v[120:121], s[12:13], v[110:111]
	v_fma_f64 v[110:111], v[120:121], s[12:13], -v[110:111]
	v_add_f64_e32 v[48:49], v[208:209], v[48:49]
	v_mul_f64_e32 v[42:43], s[30:31], v[148:149]
	v_mul_f64_e32 v[148:149], s[14:15], v[148:149]
	v_add_f64_e32 v[180:181], v[180:181], v[218:219]
	v_add_f64_e32 v[58:59], v[58:59], v[184:185]
	;; [unrolled: 1-line block ×5, first 2 shown]
	v_mul_f64_e32 v[120:121], s[28:29], v[134:135]
	v_mul_f64_e32 v[222:223], s[14:15], v[118:119]
	v_add_f64_e32 v[104:105], v[174:175], v[104:105]
	v_add_f64_e32 v[44:45], v[146:147], v[44:45]
	v_mul_f64_e32 v[218:219], s[12:13], v[80:81]
	v_fma_f64 v[174:175], v[72:73], s[2:3], v[160:161]
	v_add_f64_e32 v[46:47], v[150:151], v[46:47]
	v_mul_f64_e32 v[208:209], s[18:19], v[80:81]
	v_mul_f64_e32 v[118:119], s[36:37], v[118:119]
	;; [unrolled: 1-line block ×4, first 2 shown]
	v_add_f64_e32 v[32:33], v[36:37], v[32:33]
	v_add_f64_e32 v[40:41], v[40:41], v[220:221]
	;; [unrolled: 1-line block ×3, first 2 shown]
	v_mul_f64_e32 v[210:211], s[14:15], v[134:135]
	v_add_f64_e32 v[126:127], v[126:127], v[168:169]
	v_add_f64_e32 v[34:35], v[38:39], v[34:35]
	v_add_f64_e64 v[38:39], v[116:117], -v[56:57]
	v_add_f64_e32 v[56:57], v[166:167], v[114:115]
	v_fma_f64 v[114:115], v[72:73], s[12:13], -v[200:201]
	v_mul_f64_e32 v[220:221], s[16:17], v[134:135]
	v_fma_f64 v[116:117], v[88:89], s[12:13], v[152:153]
	v_fma_f64 v[166:167], v[72:73], s[18:19], -v[176:177]
	v_add_f64_e32 v[158:159], v[158:159], v[170:171]
	v_add_f64_e32 v[60:61], v[154:155], v[60:61]
	;; [unrolled: 1-line block ×3, first 2 shown]
	v_add_f64_e64 v[66:67], v[112:113], -v[204:205]
	v_fma_f64 v[112:113], v[88:89], s[12:13], -v[152:153]
	v_add_f64_e32 v[28:29], v[162:163], v[28:29]
	v_add_f64_e32 v[36:37], v[110:111], v[178:179]
	;; [unrolled: 1-line block ×3, first 2 shown]
	v_fma_f64 v[110:111], v[72:73], s[12:13], v[200:201]
	v_fma_f64 v[152:153], v[72:73], s[18:19], v[176:177]
	v_fma_f64 v[162:163], v[88:89], s[18:19], -v[42:43]
	v_fma_f64 v[42:43], v[88:89], s[18:19], v[42:43]
	v_fma_f64 v[72:73], v[72:73], s[2:3], -v[160:161]
	v_fma_f64 v[160:161], v[88:89], s[2:3], -v[148:149]
	v_fma_f64 v[88:89], v[88:89], s[2:3], v[148:149]
	v_add_f64_e32 v[148:149], v[226:227], v[180:181]
	v_add_f64_e32 v[58:59], v[172:173], v[58:59]
	;; [unrolled: 1-line block ×6, first 2 shown]
	v_mul_f64_e32 v[134:135], s[36:37], v[134:135]
	v_add_f64_e64 v[92:93], v[92:93], -v[120:121]
	v_add_f64_e32 v[44:45], v[106:107], v[44:45]
	v_mul_f64_e32 v[136:137], s[34:35], v[140:141]
	v_add_f64_e32 v[96:97], v[218:219], v[96:97]
	v_add_f64_e32 v[24:25], v[32:33], v[24:25]
	;; [unrolled: 1-line block ×8, first 2 shown]
	v_fma_f64 v[34:35], v[70:71], s[2:3], v[210:211]
	v_mul_f64_e32 v[144:145], s[12:13], v[74:75]
	v_add_f64_e64 v[98:99], v[98:99], -v[220:221]
	v_add_f64_e32 v[100:101], v[208:209], v[100:101]
	v_mul_f64_e32 v[168:169], s[14:15], v[140:141]
	v_add_f64_e32 v[138:139], v[138:139], v[158:159]
	v_mul_f64_e32 v[170:171], s[14:15], v[124:125]
	v_add_f64_e32 v[30:31], v[122:123], v[30:31]
	v_fma_f64 v[122:123], v[70:71], s[2:3], -v[210:211]
	v_fma_f64 v[154:155], v[70:71], s[22:23], -v[212:213]
	v_add_f64_e32 v[28:29], v[132:133], v[28:29]
	v_add_f64_e32 v[32:33], v[164:165], v[36:37]
	v_fma_f64 v[36:37], v[80:81], s[2:3], -v[222:223]
	v_add_f64_e32 v[48:49], v[114:115], v[48:49]
	v_fma_f64 v[156:157], v[80:81], s[22:23], v[214:215]
	v_fma_f64 v[132:133], v[80:81], s[2:3], v[222:223]
	;; [unrolled: 1-line block ×3, first 2 shown]
	v_fma_f64 v[150:151], v[80:81], s[22:23], -v[214:215]
	v_mul_f64_e32 v[140:141], s[24:25], v[140:141]
	v_mul_f64_e32 v[124:125], s[24:25], v[124:125]
	v_add_f64_e32 v[110:111], v[110:111], v[148:149]
	v_add_f64_e32 v[38:39], v[38:39], v[58:59]
	;; [unrolled: 1-line block ×6, first 2 shown]
	v_fma_f64 v[120:121], v[70:71], s[20:21], v[134:135]
	v_fma_f64 v[158:159], v[80:81], s[20:21], -v[118:119]
	v_fma_f64 v[70:71], v[70:71], s[20:21], -v[134:135]
	v_fma_f64 v[80:81], v[80:81], s[20:21], v[118:119]
	v_fma_f64 v[66:67], v[68:69], s[6:7], -v[130:131]
	v_add_f64_e32 v[20:21], v[24:25], v[20:21]
	v_add_f64_e32 v[40:41], v[112:113], v[40:41]
	v_add_f64_e32 v[50:51], v[116:117], v[50:51]
	v_add_f64_e32 v[112:113], v[152:153], v[176:177]
	v_add_f64_e32 v[52:53], v[104:105], v[52:53]
	v_add_f64_e32 v[42:43], v[42:43], v[126:127]
	v_add_f64_e32 v[22:23], v[26:27], v[22:23]
	v_add_f64_e32 v[76:77], v[236:237], v[76:77]
	v_add_f64_e32 v[44:45], v[92:93], v[44:45]
	v_fma_f64 v[26:27], v[68:69], s[6:7], v[130:131]
	v_add_f64_e64 v[94:95], v[94:95], -v[136:137]
	v_add_f64_e64 v[84:85], v[84:85], -v[184:185]
	v_add_f64_e32 v[62:63], v[174:175], v[138:139]
	v_add_f64_e32 v[46:47], v[96:97], v[46:47]
	;; [unrolled: 1-line block ×4, first 2 shown]
	v_fma_f64 v[106:107], v[68:69], s[2:3], -v[168:169]
	v_add_f64_e32 v[28:29], v[88:89], v[28:29]
	v_add_f64_e32 v[24:25], v[160:161], v[32:33]
	v_fma_f64 v[32:33], v[74:75], s[6:7], -v[128:129]
	v_fma_f64 v[108:109], v[74:75], s[2:3], v[170:171]
	v_fma_f64 v[72:73], v[74:75], s[6:7], v[128:129]
	;; [unrolled: 1-line block ×3, first 2 shown]
	v_fma_f64 v[104:105], v[74:75], s[2:3], -v[170:171]
	v_fma_f64 v[114:115], v[68:69], s[18:19], v[140:141]
	v_fma_f64 v[116:117], v[74:75], s[18:19], -v[124:125]
	v_add_f64_e32 v[34:35], v[34:35], v[110:111]
	v_add_f64_e32 v[38:39], v[102:103], v[38:39]
	;; [unrolled: 1-line block ×6, first 2 shown]
	v_fma_f64 v[68:69], v[68:69], s[18:19], -v[140:141]
	v_fma_f64 v[74:75], v[74:75], s[18:19], v[124:125]
	v_add_f64_e32 v[96:97], v[20:21], v[16:17]
	v_add_f64_e32 v[36:37], v[36:37], v[40:41]
	v_add_f64_e32 v[40:41], v[122:123], v[48:49]
	v_add_f64_e32 v[48:49], v[132:133], v[50:51]
	v_add_f64_e32 v[52:53], v[90:91], v[52:53]
	v_add_f64_e32 v[90:91], v[156:157], v[42:43]
	v_add_f64_e32 v[50:51], v[146:147], v[112:113]
	v_add_f64_e32 v[92:93], v[22:23], v[18:19]
	v_add_f64_e32 v[42:43], v[78:79], v[44:45]
	v_add_f64_e32 v[62:63], v[120:121], v[62:63]
	v_add_f64_e32 v[70:71], v[70:71], v[30:31]
	v_add_f64_e32 v[80:81], v[80:81], v[28:29]
	v_add_f64_e32 v[98:99], v[158:159], v[24:25]
	v_add_f64_e32 v[18:19], v[26:27], v[34:35]
	v_add_f64_e32 v[34:35], v[94:95], v[38:39]
	v_add_f64_e32 v[38:39], v[84:85], v[58:59]
	v_add_f64_e32 v[30:31], v[106:107], v[54:55]
	v_add_f64_e32 v[24:25], v[104:105], v[60:61]
	v_add_f64_e32 v[12:13], v[96:97], v[12:13]
	v_add_f64_e32 v[16:17], v[32:33], v[36:37]
	v_add_f64_e32 v[22:23], v[66:67], v[40:41]
	v_add_f64_e32 v[36:37], v[82:83], v[46:47]
	v_add_f64_e32 v[40:41], v[76:77], v[52:53]
	v_add_f64_e32 v[32:33], v[86:87], v[56:57]
	v_add_f64_e32 v[28:29], v[108:109], v[90:91]
	v_add_f64_e32 v[20:21], v[72:73], v[48:49]
	v_add_f64_e32 v[26:27], v[88:89], v[50:51]
	v_add_f64_e32 v[14:15], v[92:93], v[14:15]
	v_mad_u32_u24 v52, 0xc0, v195, v186
	v_add_f64_e32 v[46:47], v[114:115], v[62:63]
	v_add_f64_e32 v[50:51], v[68:69], v[70:71]
	;; [unrolled: 1-line block ×4, first 2 shown]
	ds_store_b128 v52, v[4:7] offset:160
	ds_store_b128 v52, v[8:11] offset:176
	;; [unrolled: 1-line block ×11, first 2 shown]
	ds_store_b128 v52, v[12:15]
	ds_store_b128 v52, v[44:47] offset:192
.LBB0_13:
	s_or_b32 exec_lo, exec_lo, s1
	v_and_b32_e32 v12, 0xff, v195
	global_wb scope:SCOPE_SE
	s_wait_dscnt 0x0
	s_barrier_signal -1
	s_barrier_wait -1
	global_inv scope:SCOPE_SE
	v_mul_lo_u16 v12, 0x4f, v12
	s_mov_b32 s0, 0x8c811c17
	s_mov_b32 s6, 0xa2cf5039
	;; [unrolled: 1-line block ×4, first 2 shown]
	v_lshrrev_b16 v98, 10, v12
	s_mov_b32 s1, 0x3fef838b
	s_mov_b32 s7, 0x3fe8836f
	;; [unrolled: 1-line block ×4, first 2 shown]
	v_mul_lo_u16 v12, v98, 13
	s_delay_alu instid0(VALU_DEP_1) | instskip(NEXT) | instid1(VALU_DEP_1)
	v_sub_nc_u16 v12, v195, v12
	v_and_b32_e32 v99, 0xff, v12
	s_delay_alu instid0(VALU_DEP_1)
	v_lshlrev_b32_e32 v40, 7, v99
	s_clause 0x7
	global_load_b128 v[12:15], v40, s[4:5]
	global_load_b128 v[16:19], v40, s[4:5] offset:112
	global_load_b128 v[20:23], v40, s[4:5] offset:16
	;; [unrolled: 1-line block ×7, first 2 shown]
	ds_load_b128 v[44:47], v186 offset:832
	ds_load_b128 v[48:51], v186 offset:6656
	;; [unrolled: 1-line block ×7, first 2 shown]
	s_wait_loadcnt_dscnt 0x706
	v_mul_f64_e32 v[74:75], v[46:47], v[14:15]
	v_mul_f64_e32 v[14:15], v[44:45], v[14:15]
	s_wait_loadcnt_dscnt 0x605
	v_mul_f64_e32 v[76:77], v[50:51], v[18:19]
	v_mul_f64_e32 v[18:19], v[48:49], v[18:19]
	;; [unrolled: 3-line block ×3, first 2 shown]
	s_wait_loadcnt_dscnt 0x403
	v_mul_f64_e32 v[80:81], v[58:59], v[26:27]
	s_wait_loadcnt_dscnt 0x302
	v_mul_f64_e32 v[82:83], v[62:63], v[30:31]
	v_mul_f64_e32 v[26:27], v[56:57], v[26:27]
	;; [unrolled: 1-line block ×3, first 2 shown]
	s_wait_loadcnt_dscnt 0x201
	v_mul_f64_e32 v[84:85], v[68:69], v[34:35]
	v_mul_f64_e32 v[34:35], v[66:67], v[34:35]
	v_fma_f64 v[44:45], v[44:45], v[12:13], v[74:75]
	v_fma_f64 v[46:47], v[46:47], v[12:13], -v[14:15]
	v_fma_f64 v[48:49], v[48:49], v[16:17], v[76:77]
	v_fma_f64 v[16:17], v[50:51], v[16:17], -v[18:19]
	;; [unrolled: 2-line block ×3, first 2 shown]
	v_fma_f64 v[22:23], v[56:57], v[24:25], v[80:81]
	v_fma_f64 v[52:53], v[60:61], v[28:29], v[82:83]
	v_fma_f64 v[24:25], v[58:59], v[24:25], -v[26:27]
	v_fma_f64 v[26:27], v[62:63], v[28:29], -v[30:31]
	v_fma_f64 v[28:29], v[66:67], v[32:33], v[84:85]
	v_fma_f64 v[30:31], v[68:69], v[32:33], -v[34:35]
	ds_load_b128 v[12:15], v186 offset:4992
	s_wait_loadcnt_dscnt 0x101
	v_mul_f64_e32 v[32:33], v[72:73], v[38:39]
	v_mul_f64_e32 v[34:35], v[70:71], v[38:39]
	v_add_f64_e64 v[54:55], v[44:45], -v[48:49]
	v_add_f64_e64 v[56:57], v[46:47], -v[16:17]
	v_add_f64_e32 v[46:47], v[46:47], v[16:17]
	ds_load_b128 v[16:19], v186
	s_wait_loadcnt_dscnt 0x1
	v_mul_f64_e32 v[38:39], v[14:15], v[42:43]
	v_mul_f64_e32 v[42:43], v[12:13], v[42:43]
	v_add_f64_e32 v[44:45], v[44:45], v[48:49]
	v_add_f64_e32 v[48:49], v[22:23], v[52:53]
	v_add_f64_e64 v[58:59], v[22:23], -v[52:53]
	v_add_f64_e64 v[60:61], v[24:25], -v[26:27]
	v_add_f64_e32 v[62:63], v[50:51], v[28:29]
	v_add_f64_e32 v[66:67], v[20:21], v[30:31]
	;; [unrolled: 1-line block ×3, first 2 shown]
	v_fma_f64 v[32:33], v[70:71], v[36:37], v[32:33]
	v_fma_f64 v[34:35], v[72:73], v[36:37], -v[34:35]
	v_add_f64_e64 v[28:29], v[50:51], -v[28:29]
	v_add_f64_e64 v[20:21], v[20:21], -v[30:31]
	global_wb scope:SCOPE_SE
	s_wait_dscnt 0x0
	s_barrier_signal -1
	s_barrier_wait -1
	global_inv scope:SCOPE_SE
	s_wait_alu 0xfffe
	v_mul_f64_e32 v[30:31], s[2:3], v[54:55]
	v_mul_f64_e32 v[36:37], s[2:3], v[56:57]
	s_mov_b32 s3, 0xbfe491b7
	v_fma_f64 v[12:13], v[12:13], v[40:41], v[38:39]
	v_fma_f64 v[14:15], v[14:15], v[40:41], -v[42:43]
	v_fma_f64 v[38:39], v[44:45], s[6:7], v[16:17]
	v_fma_f64 v[40:41], v[46:47], s[6:7], v[18:19]
	;; [unrolled: 1-line block ×3, first 2 shown]
	v_mul_f64_e32 v[50:51], s[0:1], v[58:59]
	v_mul_f64_e32 v[70:71], s[0:1], v[60:61]
	v_fma_f64 v[72:73], v[62:63], s[6:7], v[16:17]
	v_fma_f64 v[74:75], v[66:67], s[6:7], v[18:19]
	;; [unrolled: 1-line block ×3, first 2 shown]
	s_wait_alu 0xfffe
	v_mul_f64_e32 v[78:79], s[2:3], v[60:61]
	v_mul_f64_e32 v[80:81], s[2:3], v[58:59]
	v_add_f64_e32 v[86:87], v[62:63], v[44:45]
	v_add_f64_e32 v[88:89], v[66:67], v[46:47]
	s_mov_b32 s6, 0x7e0b738b
	s_mov_b32 s7, 0x3fc63a1a
	v_fma_f64 v[30:31], v[28:29], s[0:1], v[30:31]
	v_add_f64_e32 v[82:83], v[32:33], v[12:13]
	v_add_f64_e32 v[84:85], v[34:35], v[14:15]
	v_add_f64_e64 v[12:13], v[32:33], -v[12:13]
	v_add_f64_e64 v[14:15], v[34:35], -v[14:15]
	v_fma_f64 v[32:33], v[20:21], s[0:1], v[36:37]
	s_wait_alu 0xfffe
	v_fma_f64 v[34:35], v[62:63], s[6:7], v[38:39]
	v_fma_f64 v[36:37], v[66:67], s[6:7], v[40:41]
	;; [unrolled: 1-line block ×3, first 2 shown]
	v_fma_f64 v[40:41], v[28:29], s[2:3], -v[50:51]
	v_fma_f64 v[42:43], v[20:21], s[2:3], -v[70:71]
	v_fma_f64 v[50:51], v[48:49], s[6:7], v[72:73]
	v_fma_f64 v[70:71], v[68:69], s[6:7], v[74:75]
	;; [unrolled: 1-line block ×5, first 2 shown]
	v_add_f64_e32 v[94:95], v[48:49], v[86:87]
	v_add_f64_e32 v[96:97], v[68:69], v[88:89]
	s_mov_b32 s0, 0xe8584cab
	s_mov_b32 s1, 0x3febb67a
	s_mov_b32 s3, 0xbfebb67a
	s_wait_alu 0xfffe
	s_mov_b32 s2, s0
	v_add_f64_e32 v[78:79], v[58:59], v[54:55]
	v_add_f64_e32 v[80:81], v[60:61], v[56:57]
	s_mov_b32 s6, 0x748a0bf8
	s_mov_b32 s7, 0x3fd5e3a8
	v_add_f64_e32 v[86:87], v[82:83], v[86:87]
	v_add_f64_e32 v[88:89], v[84:85], v[88:89]
	v_fma_f64 v[30:31], v[12:13], s[0:1], v[30:31]
	v_add_f64_e32 v[90:91], v[16:17], v[82:83]
	v_fma_f64 v[32:33], v[14:15], s[0:1], v[32:33]
	v_fma_f64 v[34:35], v[82:83], -0.5, v[34:35]
	v_fma_f64 v[36:37], v[84:85], -0.5, v[36:37]
	v_fma_f64 v[38:39], v[82:83], -0.5, v[38:39]
	v_fma_f64 v[40:41], v[12:13], s[0:1], v[40:41]
	v_fma_f64 v[42:43], v[14:15], s[0:1], v[42:43]
	v_fma_f64 v[50:51], v[82:83], -0.5, v[50:51]
	v_fma_f64 v[70:71], v[84:85], -0.5, v[70:71]
	v_add_f64_e32 v[92:93], v[18:19], v[84:85]
	v_fma_f64 v[72:73], v[84:85], -0.5, v[72:73]
	s_wait_alu 0xfffe
	v_fma_f64 v[14:15], v[14:15], s[2:3], v[74:75]
	v_fma_f64 v[12:13], v[12:13], s[2:3], v[76:77]
	v_add_f64_e64 v[74:75], v[78:79], -v[28:29]
	v_add_f64_e64 v[76:77], v[80:81], -v[20:21]
	v_add_f64_e32 v[22:23], v[22:23], v[86:87]
	v_add_f64_e32 v[24:25], v[24:25], v[88:89]
	v_fma_f64 v[58:59], v[58:59], s[6:7], v[30:31]
	v_fma_f64 v[78:79], v[94:95], -0.5, v[90:91]
	v_fma_f64 v[60:61], v[60:61], s[6:7], v[32:33]
	v_fma_f64 v[30:31], v[48:49], s[12:13], v[34:35]
	;; [unrolled: 1-line block ×8, first 2 shown]
	v_fma_f64 v[80:81], v[96:97], -0.5, v[92:93]
	v_fma_f64 v[42:43], v[66:67], s[12:13], v[72:73]
	v_fma_f64 v[44:45], v[20:21], s[6:7], v[14:15]
	;; [unrolled: 1-line block ×3, first 2 shown]
	v_mul_f64_e32 v[12:13], s[0:1], v[74:75]
	v_mul_f64_e32 v[14:15], s[0:1], v[76:77]
	v_add_f64_e32 v[50:51], v[52:53], v[22:23]
	v_add_f64_e32 v[52:53], v[26:27], v[24:25]
	v_fma_f64 v[20:21], v[76:77], s[2:3], v[78:79]
	v_add_f64_e64 v[24:25], v[30:31], -v[60:61]
	v_add_f64_e32 v[26:27], v[58:59], v[32:33]
	v_add_f64_e64 v[28:29], v[36:37], -v[40:41]
	v_add_f64_e32 v[30:31], v[48:49], v[38:39]
	v_fma_f64 v[22:23], v[74:75], s[0:1], v[80:81]
	v_cmp_gt_u32_e64 s0, 13, v195
	v_add_f64_e64 v[32:33], v[34:35], -v[44:45]
	v_add_f64_e32 v[34:35], v[46:47], v[42:43]
	v_add_f64_e32 v[16:17], v[16:17], v[50:51]
	;; [unrolled: 1-line block ×3, first 2 shown]
	v_fma_f64 v[36:37], v[14:15], 2.0, v[20:21]
	v_fma_f64 v[14:15], v[58:59], -2.0, v[26:27]
	v_fma_f64 v[40:41], v[40:41], 2.0, v[28:29]
	v_fma_f64 v[42:43], v[48:49], -2.0, v[30:31]
	v_fma_f64 v[38:39], v[12:13], -2.0, v[22:23]
	v_fma_f64 v[12:13], v[60:61], 2.0, v[24:25]
	v_fma_f64 v[44:45], v[44:45], 2.0, v[32:33]
	v_fma_f64 v[46:47], v[46:47], -2.0, v[34:35]
	v_and_b32_e32 v48, 0xffff, v98
	v_lshlrev_b32_e32 v49, 4, v99
	s_delay_alu instid0(VALU_DEP_2) | instskip(NEXT) | instid1(VALU_DEP_1)
	v_mul_u32_u24_e32 v48, 0x750, v48
	v_add3_u32 v48, 0, v48, v49
	ds_store_b128 v48, v[16:19]
	ds_store_b128 v48, v[24:27] offset:208
	ds_store_b128 v48, v[32:35] offset:416
	;; [unrolled: 1-line block ×8, first 2 shown]
	global_wb scope:SCOPE_SE
	s_wait_dscnt 0x0
	s_barrier_signal -1
	s_barrier_wait -1
	global_inv scope:SCOPE_SE
	ds_load_b128 v[16:19], v186
	ds_load_b128 v[20:23], v186 offset:832
	ds_load_b128 v[36:39], v186 offset:1872
	;; [unrolled: 1-line block ×7, first 2 shown]
	s_and_saveexec_b32 s1, s0
	s_cbranch_execz .LBB0_15
; %bb.14:
	ds_load_b128 v[12:15], v186 offset:1664
	ds_load_b128 v[0:3], v186 offset:3536
	ds_load_b128 v[4:7], v186 offset:5408
	ds_load_b128 v[8:11], v186 offset:7280
.LBB0_15:
	s_wait_alu 0xfffe
	s_or_b32 exec_lo, exec_lo, s1
	v_mul_u32_u24_e32 v48, 3, v195
	s_delay_alu instid0(VALU_DEP_1)
	v_lshlrev_b32_e32 v70, 4, v48
	s_clause 0x5
	global_load_b128 v[48:51], v70, s[4:5] offset:1664
	global_load_b128 v[52:55], v70, s[4:5] offset:1680
	;; [unrolled: 1-line block ×6, first 2 shown]
	global_wb scope:SCOPE_SE
	s_wait_loadcnt_dscnt 0x0
	s_barrier_signal -1
	s_barrier_wait -1
	global_inv scope:SCOPE_SE
	v_mul_f64_e32 v[74:75], v[38:39], v[50:51]
	v_mul_f64_e32 v[50:51], v[36:37], v[50:51]
	;; [unrolled: 1-line block ×12, first 2 shown]
	v_fma_f64 v[36:37], v[36:37], v[48:49], v[74:75]
	v_fma_f64 v[38:39], v[38:39], v[48:49], -v[50:51]
	v_fma_f64 v[40:41], v[40:41], v[52:53], v[76:77]
	v_fma_f64 v[42:43], v[42:43], v[52:53], -v[54:55]
	;; [unrolled: 2-line block ×6, first 2 shown]
	v_add_f64_e64 v[40:41], v[16:17], -v[40:41]
	v_add_f64_e64 v[42:43], v[18:19], -v[42:43]
	;; [unrolled: 1-line block ×8, first 2 shown]
	v_fma_f64 v[52:53], v[16:17], 2.0, -v[40:41]
	v_fma_f64 v[54:55], v[18:19], 2.0, -v[42:43]
	;; [unrolled: 1-line block ×4, first 2 shown]
	v_add_f64_e32 v[16:17], v[40:41], v[46:47]
	v_add_f64_e64 v[18:19], v[42:43], -v[44:45]
	v_fma_f64 v[56:57], v[20:21], 2.0, -v[48:49]
	v_fma_f64 v[58:59], v[22:23], 2.0, -v[50:51]
	;; [unrolled: 1-line block ×4, first 2 shown]
	v_add_f64_e32 v[20:21], v[48:49], v[30:31]
	v_add_f64_e64 v[22:23], v[50:51], -v[28:29]
	v_add_f64_e64 v[24:25], v[52:53], -v[32:33]
	;; [unrolled: 1-line block ×3, first 2 shown]
	v_fma_f64 v[32:33], v[40:41], 2.0, -v[16:17]
	v_fma_f64 v[34:35], v[42:43], 2.0, -v[18:19]
	v_add_f64_e64 v[28:29], v[56:57], -v[36:37]
	v_add_f64_e64 v[30:31], v[58:59], -v[38:39]
	v_fma_f64 v[36:37], v[48:49], 2.0, -v[20:21]
	v_fma_f64 v[38:39], v[50:51], 2.0, -v[22:23]
	;; [unrolled: 1-line block ×6, first 2 shown]
	ds_store_b128 v186, v[32:35] offset:1872
	ds_store_b128 v186, v[36:39] offset:2704
	;; [unrolled: 1-line block ×4, first 2 shown]
	ds_store_b128 v186, v[40:43]
	ds_store_b128 v186, v[44:47] offset:832
	ds_store_b128 v186, v[16:19] offset:5616
	;; [unrolled: 1-line block ×3, first 2 shown]
	s_and_saveexec_b32 s1, s0
	s_cbranch_execz .LBB0_17
; %bb.16:
	v_dual_mov_b32 v17, 0 :: v_dual_add_nc_u32 v16, -13, v195
	s_delay_alu instid0(VALU_DEP_1) | instskip(NEXT) | instid1(VALU_DEP_1)
	v_cndmask_b32_e64 v16, v16, v194, s0
	v_mul_i32_i24_e32 v16, 3, v16
	s_delay_alu instid0(VALU_DEP_1) | instskip(NEXT) | instid1(VALU_DEP_1)
	v_lshlrev_b64_e32 v[16:17], 4, v[16:17]
	v_add_co_u32 v24, s0, s4, v16
	s_wait_alu 0xf1ff
	s_delay_alu instid0(VALU_DEP_2)
	v_add_co_ci_u32_e64 v25, s0, s5, v17, s0
	s_clause 0x2
	global_load_b128 v[16:19], v[24:25], off offset:1680
	global_load_b128 v[20:23], v[24:25], off offset:1664
	;; [unrolled: 1-line block ×3, first 2 shown]
	s_wait_loadcnt 0x2
	v_mul_f64_e32 v[28:29], v[4:5], v[18:19]
	s_wait_loadcnt 0x1
	v_mul_f64_e32 v[30:31], v[2:3], v[22:23]
	v_mul_f64_e32 v[22:23], v[0:1], v[22:23]
	s_wait_loadcnt 0x0
	v_mul_f64_e32 v[32:33], v[8:9], v[26:27]
	v_mul_f64_e32 v[18:19], v[6:7], v[18:19]
	;; [unrolled: 1-line block ×3, first 2 shown]
	v_fma_f64 v[6:7], v[6:7], v[16:17], -v[28:29]
	v_fma_f64 v[0:1], v[0:1], v[20:21], v[30:31]
	v_fma_f64 v[2:3], v[2:3], v[20:21], -v[22:23]
	v_fma_f64 v[10:11], v[10:11], v[24:25], -v[32:33]
	v_fma_f64 v[4:5], v[4:5], v[16:17], v[18:19]
	v_fma_f64 v[8:9], v[8:9], v[24:25], v[26:27]
	v_add_f64_e64 v[16:17], v[14:15], -v[6:7]
	s_delay_alu instid0(VALU_DEP_4) | instskip(NEXT) | instid1(VALU_DEP_4)
	v_add_f64_e64 v[10:11], v[2:3], -v[10:11]
	v_add_f64_e64 v[18:19], v[12:13], -v[4:5]
	s_delay_alu instid0(VALU_DEP_4) | instskip(NEXT) | instid1(VALU_DEP_4)
	v_add_f64_e64 v[4:5], v[0:1], -v[8:9]
	v_fma_f64 v[8:9], v[14:15], 2.0, -v[16:17]
	s_delay_alu instid0(VALU_DEP_4) | instskip(NEXT) | instid1(VALU_DEP_4)
	v_fma_f64 v[6:7], v[2:3], 2.0, -v[10:11]
	v_fma_f64 v[12:13], v[12:13], 2.0, -v[18:19]
	s_delay_alu instid0(VALU_DEP_4) | instskip(SKIP_1) | instid1(VALU_DEP_4)
	v_fma_f64 v[0:1], v[0:1], 2.0, -v[4:5]
	v_add_f64_e64 v[2:3], v[16:17], -v[4:5]
	v_add_f64_e64 v[6:7], v[8:9], -v[6:7]
	s_delay_alu instid0(VALU_DEP_3) | instskip(SKIP_1) | instid1(VALU_DEP_4)
	v_add_f64_e64 v[4:5], v[12:13], -v[0:1]
	v_add_f64_e32 v[0:1], v[18:19], v[10:11]
	v_fma_f64 v[10:11], v[16:17], 2.0, -v[2:3]
	s_delay_alu instid0(VALU_DEP_4) | instskip(NEXT) | instid1(VALU_DEP_4)
	v_fma_f64 v[14:15], v[8:9], 2.0, -v[6:7]
	v_fma_f64 v[12:13], v[12:13], 2.0, -v[4:5]
	s_delay_alu instid0(VALU_DEP_4)
	v_fma_f64 v[8:9], v[18:19], 2.0, -v[0:1]
	ds_store_b128 v186, v[12:15] offset:1664
	ds_store_b128 v186, v[8:11] offset:3536
	;; [unrolled: 1-line block ×4, first 2 shown]
.LBB0_17:
	s_wait_alu 0xfffe
	s_or_b32 exec_lo, exec_lo, s1
	global_wb scope:SCOPE_SE
	s_wait_dscnt 0x0
	s_barrier_signal -1
	s_barrier_wait -1
	global_inv scope:SCOPE_SE
	s_and_saveexec_b32 s0, vcc_lo
	s_cbranch_execz .LBB0_19
; %bb.18:
	v_mad_co_u64_u32 v[8:9], null, s8, v193, 0
	v_mad_co_u64_u32 v[0:1], null, s8, v195, 0
	;; [unrolled: 1-line block ×4, first 2 shown]
	s_delay_alu instid0(VALU_DEP_4) | instskip(SKIP_3) | instid1(VALU_DEP_3)
	v_mov_b32_e32 v2, v9
	v_add_co_u32 v30, vcc_lo, s10, v64
	s_wait_alu 0xfffd
	v_add_co_ci_u32_e32 v31, vcc_lo, s11, v65, vcc_lo
	v_mad_co_u64_u32 v[3:4], null, s9, v195, v[1:2]
	v_dual_mov_b32 v1, v11 :: v_dual_mov_b32 v14, v17
	s_delay_alu instid0(VALU_DEP_1) | instskip(NEXT) | instid1(VALU_DEP_3)
	v_mad_co_u64_u32 v[11:12], null, s9, v194, v[1:2]
	v_mov_b32_e32 v1, v3
	v_mad_co_u64_u32 v[4:5], null, s9, v193, v[2:3]
	s_delay_alu instid0(VALU_DEP_4) | instskip(SKIP_1) | instid1(VALU_DEP_4)
	v_mad_co_u64_u32 v[20:21], null, s9, v192, v[14:15]
	v_mad_co_u64_u32 v[21:22], null, s8, v191, 0
	v_lshlrev_b64_e32 v[12:13], 4, v[0:1]
	v_lshlrev_b64_e32 v[25:26], 4, v[10:11]
	v_mov_b32_e32 v9, v4
	ds_load_b128 v[0:3], v186
	ds_load_b128 v[4:7], v186 offset:832
	v_mov_b32_e32 v17, v20
	v_add_co_u32 v18, vcc_lo, v30, v12
	v_mov_b32_e32 v20, v22
	v_lshlrev_b64_e32 v[8:9], 4, v[8:9]
	s_wait_alu 0xfffd
	v_add_co_ci_u32_e32 v19, vcc_lo, v31, v13, vcc_lo
	s_delay_alu instid0(VALU_DEP_3) | instskip(NEXT) | instid1(VALU_DEP_3)
	v_mad_co_u64_u32 v[27:28], null, s9, v191, v[20:21]
	v_add_co_u32 v23, vcc_lo, v30, v8
	s_wait_alu 0xfffd
	v_add_co_ci_u32_e32 v24, vcc_lo, v31, v9, vcc_lo
	ds_load_b128 v[8:11], v186 offset:1664
	ds_load_b128 v[12:15], v186 offset:2496
	v_mad_co_u64_u32 v[28:29], null, s8, v190, 0
	v_mov_b32_e32 v22, v27
	v_lshlrev_b64_e32 v[16:17], 4, v[16:17]
	v_add_co_u32 v25, vcc_lo, v30, v25
	s_wait_alu 0xfffd
	v_add_co_ci_u32_e32 v26, vcc_lo, v31, v26, vcc_lo
	s_wait_dscnt 0x3
	global_store_b128 v[18:19], v[0:3], off
	v_lshlrev_b64_e32 v[1:2], 4, v[21:22]
	v_add_co_u32 v16, vcc_lo, v30, v16
	v_mov_b32_e32 v0, v29
	s_wait_alu 0xfffd
	v_add_co_ci_u32_e32 v17, vcc_lo, v31, v17, vcc_lo
	s_wait_dscnt 0x2
	global_store_b128 v[23:24], v[4:7], off
	s_wait_dscnt 0x1
	global_store_b128 v[25:26], v[8:11], off
	;; [unrolled: 2-line block ×3, first 2 shown]
	v_mad_co_u64_u32 v[8:9], null, s8, v189, 0
	v_mad_co_u64_u32 v[3:4], null, s9, v190, v[0:1]
	;; [unrolled: 1-line block ×4, first 2 shown]
	s_delay_alu instid0(VALU_DEP_4) | instskip(SKIP_3) | instid1(VALU_DEP_4)
	v_mov_b32_e32 v0, v9
	v_add_co_u32 v22, vcc_lo, v30, v1
	v_mov_b32_e32 v29, v3
	v_mov_b32_e32 v13, v25
	v_mad_co_u64_u32 v[9:10], null, s9, v189, v[0:1]
	v_mov_b32_e32 v10, v21
	s_delay_alu instid0(VALU_DEP_4)
	v_lshlrev_b64_e32 v[11:12], 4, v[28:29]
	s_wait_alu 0xfffd
	v_add_co_ci_u32_e32 v23, vcc_lo, v31, v2, vcc_lo
	ds_load_b128 v[0:3], v186 offset:3328
	ds_load_b128 v[4:7], v186 offset:4160
	v_lshlrev_b64_e32 v[28:29], 4, v[8:9]
	v_mad_co_u64_u32 v[14:15], null, s9, v188, v[10:11]
	s_delay_alu instid0(VALU_DEP_1)
	v_mov_b32_e32 v21, v14
	v_mad_co_u64_u32 v[25:26], null, s9, v187, v[13:14]
	v_add_co_u32 v26, vcc_lo, v30, v11
	s_wait_alu 0xfffd
	v_add_co_ci_u32_e32 v27, vcc_lo, v31, v12, vcc_lo
	ds_load_b128 v[8:11], v186 offset:4992
	ds_load_b128 v[12:15], v186 offset:5824
	;; [unrolled: 1-line block ×3, first 2 shown]
	v_lshlrev_b64_e32 v[20:21], 4, v[20:21]
	v_add_co_u32 v28, vcc_lo, v30, v28
	v_lshlrev_b64_e32 v[24:25], 4, v[24:25]
	s_wait_alu 0xfffd
	v_add_co_ci_u32_e32 v29, vcc_lo, v31, v29, vcc_lo
	s_delay_alu instid0(VALU_DEP_4)
	v_add_co_u32 v20, vcc_lo, v30, v20
	s_wait_alu 0xfffd
	v_add_co_ci_u32_e32 v21, vcc_lo, v31, v21, vcc_lo
	v_add_co_u32 v24, vcc_lo, v30, v24
	s_wait_alu 0xfffd
	v_add_co_ci_u32_e32 v25, vcc_lo, v31, v25, vcc_lo
	s_wait_dscnt 0x4
	global_store_b128 v[22:23], v[0:3], off
	s_wait_dscnt 0x3
	global_store_b128 v[26:27], v[4:7], off
	;; [unrolled: 2-line block ×5, first 2 shown]
.LBB0_19:
	s_nop 0
	s_sendmsg sendmsg(MSG_DEALLOC_VGPRS)
	s_endpgm
	.section	.rodata,"a",@progbits
	.p2align	6, 0x0
	.amdhsa_kernel fft_rtc_back_len468_factors_13_9_4_wgs_52_tpt_52_dp_ip_CI_sbrr_dirReg
		.amdhsa_group_segment_fixed_size 0
		.amdhsa_private_segment_fixed_size 0
		.amdhsa_kernarg_size 88
		.amdhsa_user_sgpr_count 2
		.amdhsa_user_sgpr_dispatch_ptr 0
		.amdhsa_user_sgpr_queue_ptr 0
		.amdhsa_user_sgpr_kernarg_segment_ptr 1
		.amdhsa_user_sgpr_dispatch_id 0
		.amdhsa_user_sgpr_private_segment_size 0
		.amdhsa_wavefront_size32 1
		.amdhsa_uses_dynamic_stack 0
		.amdhsa_enable_private_segment 0
		.amdhsa_system_sgpr_workgroup_id_x 1
		.amdhsa_system_sgpr_workgroup_id_y 0
		.amdhsa_system_sgpr_workgroup_id_z 0
		.amdhsa_system_sgpr_workgroup_info 0
		.amdhsa_system_vgpr_workitem_id 0
		.amdhsa_next_free_vgpr 246
		.amdhsa_next_free_sgpr 44
		.amdhsa_reserve_vcc 1
		.amdhsa_float_round_mode_32 0
		.amdhsa_float_round_mode_16_64 0
		.amdhsa_float_denorm_mode_32 3
		.amdhsa_float_denorm_mode_16_64 3
		.amdhsa_fp16_overflow 0
		.amdhsa_workgroup_processor_mode 1
		.amdhsa_memory_ordered 1
		.amdhsa_forward_progress 0
		.amdhsa_round_robin_scheduling 0
		.amdhsa_exception_fp_ieee_invalid_op 0
		.amdhsa_exception_fp_denorm_src 0
		.amdhsa_exception_fp_ieee_div_zero 0
		.amdhsa_exception_fp_ieee_overflow 0
		.amdhsa_exception_fp_ieee_underflow 0
		.amdhsa_exception_fp_ieee_inexact 0
		.amdhsa_exception_int_div_zero 0
	.end_amdhsa_kernel
	.text
.Lfunc_end0:
	.size	fft_rtc_back_len468_factors_13_9_4_wgs_52_tpt_52_dp_ip_CI_sbrr_dirReg, .Lfunc_end0-fft_rtc_back_len468_factors_13_9_4_wgs_52_tpt_52_dp_ip_CI_sbrr_dirReg
                                        ; -- End function
	.section	.AMDGPU.csdata,"",@progbits
; Kernel info:
; codeLenInByte = 8268
; NumSgprs: 46
; NumVgprs: 246
; ScratchSize: 0
; MemoryBound: 0
; FloatMode: 240
; IeeeMode: 1
; LDSByteSize: 0 bytes/workgroup (compile time only)
; SGPRBlocks: 5
; VGPRBlocks: 30
; NumSGPRsForWavesPerEU: 46
; NumVGPRsForWavesPerEU: 246
; Occupancy: 5
; WaveLimiterHint : 1
; COMPUTE_PGM_RSRC2:SCRATCH_EN: 0
; COMPUTE_PGM_RSRC2:USER_SGPR: 2
; COMPUTE_PGM_RSRC2:TRAP_HANDLER: 0
; COMPUTE_PGM_RSRC2:TGID_X_EN: 1
; COMPUTE_PGM_RSRC2:TGID_Y_EN: 0
; COMPUTE_PGM_RSRC2:TGID_Z_EN: 0
; COMPUTE_PGM_RSRC2:TIDIG_COMP_CNT: 0
	.text
	.p2alignl 7, 3214868480
	.fill 96, 4, 3214868480
	.type	__hip_cuid_a56b93b61b9624e1,@object ; @__hip_cuid_a56b93b61b9624e1
	.section	.bss,"aw",@nobits
	.globl	__hip_cuid_a56b93b61b9624e1
__hip_cuid_a56b93b61b9624e1:
	.byte	0                               ; 0x0
	.size	__hip_cuid_a56b93b61b9624e1, 1

	.ident	"AMD clang version 19.0.0git (https://github.com/RadeonOpenCompute/llvm-project roc-6.4.0 25133 c7fe45cf4b819c5991fe208aaa96edf142730f1d)"
	.section	".note.GNU-stack","",@progbits
	.addrsig
	.addrsig_sym __hip_cuid_a56b93b61b9624e1
	.amdgpu_metadata
---
amdhsa.kernels:
  - .args:
      - .actual_access:  read_only
        .address_space:  global
        .offset:         0
        .size:           8
        .value_kind:     global_buffer
      - .offset:         8
        .size:           8
        .value_kind:     by_value
      - .actual_access:  read_only
        .address_space:  global
        .offset:         16
        .size:           8
        .value_kind:     global_buffer
      - .actual_access:  read_only
        .address_space:  global
        .offset:         24
        .size:           8
        .value_kind:     global_buffer
      - .offset:         32
        .size:           8
        .value_kind:     by_value
      - .actual_access:  read_only
        .address_space:  global
        .offset:         40
        .size:           8
        .value_kind:     global_buffer
      - .actual_access:  read_only
        .address_space:  global
        .offset:         48
        .size:           8
        .value_kind:     global_buffer
      - .offset:         56
        .size:           4
        .value_kind:     by_value
      - .actual_access:  read_only
        .address_space:  global
        .offset:         64
        .size:           8
        .value_kind:     global_buffer
      - .actual_access:  read_only
        .address_space:  global
        .offset:         72
        .size:           8
        .value_kind:     global_buffer
      - .address_space:  global
        .offset:         80
        .size:           8
        .value_kind:     global_buffer
    .group_segment_fixed_size: 0
    .kernarg_segment_align: 8
    .kernarg_segment_size: 88
    .language:       OpenCL C
    .language_version:
      - 2
      - 0
    .max_flat_workgroup_size: 52
    .name:           fft_rtc_back_len468_factors_13_9_4_wgs_52_tpt_52_dp_ip_CI_sbrr_dirReg
    .private_segment_fixed_size: 0
    .sgpr_count:     46
    .sgpr_spill_count: 0
    .symbol:         fft_rtc_back_len468_factors_13_9_4_wgs_52_tpt_52_dp_ip_CI_sbrr_dirReg.kd
    .uniform_work_group_size: 1
    .uses_dynamic_stack: false
    .vgpr_count:     246
    .vgpr_spill_count: 0
    .wavefront_size: 32
    .workgroup_processor_mode: 1
amdhsa.target:   amdgcn-amd-amdhsa--gfx1201
amdhsa.version:
  - 1
  - 2
...

	.end_amdgpu_metadata
